;; amdgpu-corpus repo=ROCm/rocFFT kind=compiled arch=gfx906 opt=O3
	.text
	.amdgcn_target "amdgcn-amd-amdhsa--gfx906"
	.amdhsa_code_object_version 6
	.protected	fft_rtc_back_len1600_factors_10_16_10_wgs_200_tpt_100_halfLds_dp_ip_CI_unitstride_sbrr_dirReg ; -- Begin function fft_rtc_back_len1600_factors_10_16_10_wgs_200_tpt_100_halfLds_dp_ip_CI_unitstride_sbrr_dirReg
	.globl	fft_rtc_back_len1600_factors_10_16_10_wgs_200_tpt_100_halfLds_dp_ip_CI_unitstride_sbrr_dirReg
	.p2align	8
	.type	fft_rtc_back_len1600_factors_10_16_10_wgs_200_tpt_100_halfLds_dp_ip_CI_unitstride_sbrr_dirReg,@function
fft_rtc_back_len1600_factors_10_16_10_wgs_200_tpt_100_halfLds_dp_ip_CI_unitstride_sbrr_dirReg: ; @fft_rtc_back_len1600_factors_10_16_10_wgs_200_tpt_100_halfLds_dp_ip_CI_unitstride_sbrr_dirReg
; %bb.0:
	s_load_dwordx2 s[12:13], s[4:5], 0x50
	s_load_dwordx4 s[8:11], s[4:5], 0x0
	s_load_dwordx2 s[2:3], s[4:5], 0x18
	v_mul_u32_u24_e32 v1, 0x290, v0
	v_lshrrev_b32_e32 v98, 16, v1
	v_mov_b32_e32 v3, 0
	s_waitcnt lgkmcnt(0)
	v_cmp_lt_u64_e64 s[0:1], s[10:11], 2
	v_mov_b32_e32 v1, 0
	v_lshl_add_u32 v5, s6, 1, v98
	v_mov_b32_e32 v6, v3
	s_and_b64 vcc, exec, s[0:1]
	v_mov_b32_e32 v2, 0
	s_cbranch_vccnz .LBB0_8
; %bb.1:
	s_load_dwordx2 s[0:1], s[4:5], 0x10
	s_add_u32 s6, s2, 8
	s_addc_u32 s7, s3, 0
	v_mov_b32_e32 v1, 0
	v_mov_b32_e32 v2, 0
	s_waitcnt lgkmcnt(0)
	s_add_u32 s14, s0, 8
	s_addc_u32 s15, s1, 0
	s_mov_b64 s[16:17], 1
.LBB0_2:                                ; =>This Inner Loop Header: Depth=1
	s_load_dwordx2 s[18:19], s[14:15], 0x0
                                        ; implicit-def: $vgpr7_vgpr8
	s_waitcnt lgkmcnt(0)
	v_or_b32_e32 v4, s19, v6
	v_cmp_ne_u64_e32 vcc, 0, v[3:4]
	s_and_saveexec_b64 s[0:1], vcc
	s_xor_b64 s[20:21], exec, s[0:1]
	s_cbranch_execz .LBB0_4
; %bb.3:                                ;   in Loop: Header=BB0_2 Depth=1
	v_cvt_f32_u32_e32 v4, s18
	v_cvt_f32_u32_e32 v7, s19
	s_sub_u32 s0, 0, s18
	s_subb_u32 s1, 0, s19
	v_mac_f32_e32 v4, 0x4f800000, v7
	v_rcp_f32_e32 v4, v4
	v_mul_f32_e32 v4, 0x5f7ffffc, v4
	v_mul_f32_e32 v7, 0x2f800000, v4
	v_trunc_f32_e32 v7, v7
	v_mac_f32_e32 v4, 0xcf800000, v7
	v_cvt_u32_f32_e32 v7, v7
	v_cvt_u32_f32_e32 v4, v4
	v_mul_lo_u32 v8, s0, v7
	v_mul_hi_u32 v9, s0, v4
	v_mul_lo_u32 v11, s1, v4
	v_mul_lo_u32 v10, s0, v4
	v_add_u32_e32 v8, v9, v8
	v_add_u32_e32 v8, v8, v11
	v_mul_hi_u32 v9, v4, v10
	v_mul_lo_u32 v11, v4, v8
	v_mul_hi_u32 v13, v4, v8
	v_mul_hi_u32 v12, v7, v10
	v_mul_lo_u32 v10, v7, v10
	v_mul_hi_u32 v14, v7, v8
	v_add_co_u32_e32 v9, vcc, v9, v11
	v_addc_co_u32_e32 v11, vcc, 0, v13, vcc
	v_mul_lo_u32 v8, v7, v8
	v_add_co_u32_e32 v9, vcc, v9, v10
	v_addc_co_u32_e32 v9, vcc, v11, v12, vcc
	v_addc_co_u32_e32 v10, vcc, 0, v14, vcc
	v_add_co_u32_e32 v8, vcc, v9, v8
	v_addc_co_u32_e32 v9, vcc, 0, v10, vcc
	v_add_co_u32_e32 v4, vcc, v4, v8
	v_addc_co_u32_e32 v7, vcc, v7, v9, vcc
	v_mul_lo_u32 v8, s0, v7
	v_mul_hi_u32 v9, s0, v4
	v_mul_lo_u32 v10, s1, v4
	v_mul_lo_u32 v11, s0, v4
	v_add_u32_e32 v8, v9, v8
	v_add_u32_e32 v8, v8, v10
	v_mul_lo_u32 v12, v4, v8
	v_mul_hi_u32 v13, v4, v11
	v_mul_hi_u32 v14, v4, v8
	;; [unrolled: 1-line block ×3, first 2 shown]
	v_mul_lo_u32 v11, v7, v11
	v_mul_hi_u32 v9, v7, v8
	v_add_co_u32_e32 v12, vcc, v13, v12
	v_addc_co_u32_e32 v13, vcc, 0, v14, vcc
	v_mul_lo_u32 v8, v7, v8
	v_add_co_u32_e32 v11, vcc, v12, v11
	v_addc_co_u32_e32 v10, vcc, v13, v10, vcc
	v_addc_co_u32_e32 v9, vcc, 0, v9, vcc
	v_add_co_u32_e32 v8, vcc, v10, v8
	v_addc_co_u32_e32 v9, vcc, 0, v9, vcc
	v_add_co_u32_e32 v4, vcc, v4, v8
	v_addc_co_u32_e32 v9, vcc, v7, v9, vcc
	v_mad_u64_u32 v[7:8], s[0:1], v5, v9, 0
	v_mul_hi_u32 v10, v5, v4
	v_add_co_u32_e32 v11, vcc, v10, v7
	v_addc_co_u32_e32 v12, vcc, 0, v8, vcc
	v_mad_u64_u32 v[7:8], s[0:1], v6, v4, 0
	v_mad_u64_u32 v[9:10], s[0:1], v6, v9, 0
	v_add_co_u32_e32 v4, vcc, v11, v7
	v_addc_co_u32_e32 v4, vcc, v12, v8, vcc
	v_addc_co_u32_e32 v7, vcc, 0, v10, vcc
	v_add_co_u32_e32 v4, vcc, v4, v9
	v_addc_co_u32_e32 v9, vcc, 0, v7, vcc
	v_mul_lo_u32 v10, s19, v4
	v_mul_lo_u32 v11, s18, v9
	v_mad_u64_u32 v[7:8], s[0:1], s18, v4, 0
	v_add3_u32 v8, v8, v11, v10
	v_sub_u32_e32 v10, v6, v8
	v_mov_b32_e32 v11, s19
	v_sub_co_u32_e32 v7, vcc, v5, v7
	v_subb_co_u32_e64 v10, s[0:1], v10, v11, vcc
	v_subrev_co_u32_e64 v11, s[0:1], s18, v7
	v_subbrev_co_u32_e64 v10, s[0:1], 0, v10, s[0:1]
	v_cmp_le_u32_e64 s[0:1], s19, v10
	v_cndmask_b32_e64 v12, 0, -1, s[0:1]
	v_cmp_le_u32_e64 s[0:1], s18, v11
	v_cndmask_b32_e64 v11, 0, -1, s[0:1]
	v_cmp_eq_u32_e64 s[0:1], s19, v10
	v_cndmask_b32_e64 v10, v12, v11, s[0:1]
	v_add_co_u32_e64 v11, s[0:1], 2, v4
	v_addc_co_u32_e64 v12, s[0:1], 0, v9, s[0:1]
	v_add_co_u32_e64 v13, s[0:1], 1, v4
	v_addc_co_u32_e64 v14, s[0:1], 0, v9, s[0:1]
	v_subb_co_u32_e32 v8, vcc, v6, v8, vcc
	v_cmp_ne_u32_e64 s[0:1], 0, v10
	v_cmp_le_u32_e32 vcc, s19, v8
	v_cndmask_b32_e64 v10, v14, v12, s[0:1]
	v_cndmask_b32_e64 v12, 0, -1, vcc
	v_cmp_le_u32_e32 vcc, s18, v7
	v_cndmask_b32_e64 v7, 0, -1, vcc
	v_cmp_eq_u32_e32 vcc, s19, v8
	v_cndmask_b32_e32 v7, v12, v7, vcc
	v_cmp_ne_u32_e32 vcc, 0, v7
	v_cndmask_b32_e64 v7, v13, v11, s[0:1]
	v_cndmask_b32_e32 v8, v9, v10, vcc
	v_cndmask_b32_e32 v7, v4, v7, vcc
.LBB0_4:                                ;   in Loop: Header=BB0_2 Depth=1
	s_andn2_saveexec_b64 s[0:1], s[20:21]
	s_cbranch_execz .LBB0_6
; %bb.5:                                ;   in Loop: Header=BB0_2 Depth=1
	v_cvt_f32_u32_e32 v4, s18
	s_sub_i32 s20, 0, s18
	v_rcp_iflag_f32_e32 v4, v4
	v_mul_f32_e32 v4, 0x4f7ffffe, v4
	v_cvt_u32_f32_e32 v4, v4
	v_mul_lo_u32 v7, s20, v4
	v_mul_hi_u32 v7, v4, v7
	v_add_u32_e32 v4, v4, v7
	v_mul_hi_u32 v4, v5, v4
	v_mul_lo_u32 v7, v4, s18
	v_add_u32_e32 v8, 1, v4
	v_sub_u32_e32 v7, v5, v7
	v_subrev_u32_e32 v9, s18, v7
	v_cmp_le_u32_e32 vcc, s18, v7
	v_cndmask_b32_e32 v7, v7, v9, vcc
	v_cndmask_b32_e32 v4, v4, v8, vcc
	v_add_u32_e32 v8, 1, v4
	v_cmp_le_u32_e32 vcc, s18, v7
	v_cndmask_b32_e32 v7, v4, v8, vcc
	v_mov_b32_e32 v8, v3
.LBB0_6:                                ;   in Loop: Header=BB0_2 Depth=1
	s_or_b64 exec, exec, s[0:1]
	v_mul_lo_u32 v4, v8, s18
	v_mul_lo_u32 v11, v7, s19
	v_mad_u64_u32 v[9:10], s[0:1], v7, s18, 0
	s_load_dwordx2 s[0:1], s[6:7], 0x0
	s_add_u32 s16, s16, 1
	v_add3_u32 v4, v10, v11, v4
	v_sub_co_u32_e32 v5, vcc, v5, v9
	v_subb_co_u32_e32 v4, vcc, v6, v4, vcc
	s_waitcnt lgkmcnt(0)
	v_mul_lo_u32 v4, s0, v4
	v_mul_lo_u32 v6, s1, v5
	v_mad_u64_u32 v[1:2], s[0:1], s0, v5, v[1:2]
	s_addc_u32 s17, s17, 0
	s_add_u32 s6, s6, 8
	v_add3_u32 v2, v6, v2, v4
	v_mov_b32_e32 v4, s10
	v_mov_b32_e32 v5, s11
	s_addc_u32 s7, s7, 0
	v_cmp_ge_u64_e32 vcc, s[16:17], v[4:5]
	s_add_u32 s14, s14, 8
	s_addc_u32 s15, s15, 0
	s_cbranch_vccnz .LBB0_9
; %bb.7:                                ;   in Loop: Header=BB0_2 Depth=1
	v_mov_b32_e32 v5, v7
	v_mov_b32_e32 v6, v8
	s_branch .LBB0_2
.LBB0_8:
	v_mov_b32_e32 v8, v6
	v_mov_b32_e32 v7, v5
.LBB0_9:
	s_lshl_b64 s[0:1], s[10:11], 3
	s_add_u32 s0, s2, s0
	s_addc_u32 s1, s3, s1
	s_load_dwordx2 s[2:3], s[0:1], 0x0
	s_load_dwordx2 s[6:7], s[4:5], 0x20
                                        ; implicit-def: $vgpr12_vgpr13
                                        ; implicit-def: $vgpr48_vgpr49
                                        ; implicit-def: $vgpr56_vgpr57
                                        ; implicit-def: $vgpr52_vgpr53
                                        ; implicit-def: $vgpr80_vgpr81
                                        ; implicit-def: $vgpr76_vgpr77
                                        ; implicit-def: $vgpr32_vgpr33
                                        ; implicit-def: $vgpr16_vgpr17
                                        ; implicit-def: $vgpr20_vgpr21
                                        ; implicit-def: $vgpr24_vgpr25
                                        ; implicit-def: $vgpr28_vgpr29
                                        ; implicit-def: $vgpr68_vgpr69
                                        ; implicit-def: $vgpr64_vgpr65
                                        ; implicit-def: $vgpr44_vgpr45
                                        ; implicit-def: $vgpr40_vgpr41
                                        ; implicit-def: $vgpr36_vgpr37
                                        ; implicit-def: $vgpr72_vgpr73
                                        ; implicit-def: $vgpr84_vgpr85
                                        ; implicit-def: $vgpr60_vgpr61
	s_waitcnt lgkmcnt(0)
	v_mad_u64_u32 v[1:2], s[0:1], s2, v7, v[1:2]
	v_mul_lo_u32 v3, s2, v8
	v_mul_lo_u32 v4, s3, v7
	s_mov_b32 s0, 0x28f5c29
	v_mul_hi_u32 v5, v0, s0
	v_cmp_gt_u64_e64 s[0:1], s[6:7], v[7:8]
	v_add3_u32 v2, v4, v2, v3
	v_lshlrev_b64 v[88:89], 4, v[1:2]
	v_mul_u32_u24_e32 v3, 0x64, v5
	v_sub_u32_e32 v86, v0, v3
                                        ; implicit-def: $vgpr8_vgpr9
	s_and_saveexec_b64 s[2:3], s[0:1]
	s_cbranch_execz .LBB0_13
; %bb.10:
	v_mov_b32_e32 v87, 0
	v_mov_b32_e32 v0, s13
	v_add_co_u32_e32 v16, vcc, s12, v88
	v_addc_co_u32_e32 v17, vcc, v0, v89, vcc
	v_lshlrev_b64 v[0:1], 4, v[86:87]
	s_movk_i32 s4, 0x1000
	v_add_co_u32_e32 v0, vcc, v16, v0
	v_addc_co_u32_e32 v1, vcc, v17, v1, vcc
	v_add_co_u32_e32 v2, vcc, s4, v0
	v_addc_co_u32_e32 v3, vcc, 0, v1, vcc
	global_load_dwordx4 v[58:61], v[0:1], off
	global_load_dwordx4 v[6:9], v[0:1], off offset:2560
	global_load_dwordx4 v[10:13], v[2:3], off offset:1024
	global_load_dwordx4 v[46:49], v[2:3], off offset:3584
	v_or_b32_e32 v2, 0x280, v86
	v_mov_b32_e32 v3, v87
	v_lshlrev_b64 v[2:3], 4, v[2:3]
	s_movk_i32 s4, 0x3000
	v_add_co_u32_e32 v4, vcc, v16, v2
	v_addc_co_u32_e32 v5, vcc, v17, v3, vcc
	v_add_co_u32_e32 v2, vcc, s4, v0
	v_addc_co_u32_e32 v3, vcc, 0, v1, vcc
	s_movk_i32 s4, 0x4000
	v_or_b32_e32 v14, 0x500, v86
	v_mov_b32_e32 v15, v87
	global_load_dwordx4 v[54:57], v[4:5], off
	global_load_dwordx4 v[50:53], v[2:3], off offset:512
	v_add_co_u32_e32 v4, vcc, s4, v0
	v_lshlrev_b64 v[14:15], 4, v[14:15]
	v_addc_co_u32_e32 v5, vcc, 0, v1, vcc
	v_add_co_u32_e32 v14, vcc, v16, v14
	v_addc_co_u32_e32 v15, vcc, v17, v15, vcc
	v_add_co_u32_e32 v16, vcc, 0x5000, v0
	v_addc_co_u32_e32 v17, vcc, 0, v1, vcc
	global_load_dwordx4 v[74:77], v[14:15], off
	global_load_dwordx4 v[70:73], v[16:17], off offset:2560
	global_load_dwordx4 v[82:85], v[2:3], off offset:3072
	;; [unrolled: 1-line block ×3, first 2 shown]
	s_movk_i32 s6, 0x5000
	v_cmp_gt_u32_e32 vcc, 60, v86
                                        ; implicit-def: $vgpr34_vgpr35
                                        ; implicit-def: $vgpr38_vgpr39
                                        ; implicit-def: $vgpr42_vgpr43
                                        ; implicit-def: $vgpr62_vgpr63
                                        ; implicit-def: $vgpr66_vgpr67
                                        ; implicit-def: $vgpr26_vgpr27
                                        ; implicit-def: $vgpr22_vgpr23
                                        ; implicit-def: $vgpr18_vgpr19
                                        ; implicit-def: $vgpr14_vgpr15
                                        ; implicit-def: $vgpr30_vgpr31
	s_and_saveexec_b64 s[4:5], vcc
	s_cbranch_execz .LBB0_12
; %bb.11:
	v_add_co_u32_e32 v22, vcc, 0x1000, v0
	v_addc_co_u32_e32 v23, vcc, 0, v1, vcc
	s_movk_i32 s7, 0x2000
	v_add_co_u32_e32 v62, vcc, s7, v0
	v_addc_co_u32_e32 v63, vcc, 0, v1, vcc
	global_load_dwordx4 v[14:17], v[22:23], off offset:64
	global_load_dwordx4 v[18:21], v[22:23], off offset:2624
	s_nop 0
	global_load_dwordx4 v[22:25], v[62:63], off offset:1088
	global_load_dwordx4 v[26:29], v[62:63], off offset:3648
	;; [unrolled: 1-line block ×6, first 2 shown]
	v_add_co_u32_e32 v2, vcc, s6, v0
	v_addc_co_u32_e32 v3, vcc, 0, v1, vcc
	v_add_co_u32_e32 v0, vcc, 0x6000, v0
	v_addc_co_u32_e32 v1, vcc, 0, v1, vcc
	global_load_dwordx4 v[62:65], v[2:3], off offset:1600
	global_load_dwordx4 v[66:69], v[0:1], off offset:64
.LBB0_12:
	s_or_b64 exec, exec, s[4:5]
.LBB0_13:
	s_or_b64 exec, exec, s[2:3]
	s_waitcnt vmcnt(1)
	v_add_f64 v[0:1], v[54:55], v[82:83]
	v_add_f64 v[4:5], v[10:11], v[74:75]
	v_add_f64 v[2:3], v[12:13], -v[76:77]
	v_add_f64 v[90:91], v[56:57], -v[84:85]
	s_mov_b32 s14, 0x134454ff
	s_mov_b32 s15, 0xbfee6f0e
	;; [unrolled: 1-line block ×4, first 2 shown]
	v_fma_f64 v[0:1], v[0:1], -0.5, v[58:59]
	v_fma_f64 v[4:5], v[4:5], -0.5, v[58:59]
	v_add_f64 v[92:93], v[10:11], -v[54:55]
	v_add_f64 v[94:95], v[74:75], -v[82:83]
	;; [unrolled: 1-line block ×4, first 2 shown]
	s_mov_b32 s6, 0x4755a5e
	s_mov_b32 s7, 0xbfe2cf23
	v_fma_f64 v[101:102], v[2:3], s[14:15], v[0:1]
	v_fma_f64 v[0:1], v[2:3], s[4:5], v[0:1]
	;; [unrolled: 1-line block ×3, first 2 shown]
	s_mov_b32 s11, 0x3fe2cf23
	s_mov_b32 s10, s6
	v_fma_f64 v[4:5], v[90:91], s[14:15], v[4:5]
	v_add_f64 v[92:93], v[92:93], v[94:95]
	v_add_f64 v[94:95], v[96:97], v[99:100]
	v_fma_f64 v[96:97], v[90:91], s[6:7], v[101:102]
	v_fma_f64 v[0:1], v[90:91], s[10:11], v[0:1]
	;; [unrolled: 1-line block ×3, first 2 shown]
	s_waitcnt vmcnt(0)
	v_add_f64 v[99:100], v[52:53], v[80:81]
	s_mov_b32 s16, 0x372fe950
	s_mov_b32 s17, 0x3fd3c6ef
	v_add_f64 v[101:102], v[50:51], v[78:79]
	v_fma_f64 v[2:3], v[2:3], s[10:11], v[4:5]
	v_fma_f64 v[4:5], v[92:93], s[16:17], v[96:97]
	v_add_f64 v[96:97], v[46:47], -v[50:51]
	v_fma_f64 v[103:104], v[94:95], s[16:17], v[90:91]
	v_fma_f64 v[90:91], v[99:100], -0.5, v[8:9]
	v_add_f64 v[99:100], v[70:71], -v[78:79]
	v_add_f64 v[105:106], v[48:49], v[72:73]
	v_fma_f64 v[0:1], v[92:93], s[16:17], v[0:1]
	v_add_f64 v[92:93], v[46:47], -v[70:71]
	v_fma_f64 v[2:3], v[94:95], s[16:17], v[2:3]
	v_fma_f64 v[94:95], v[101:102], -0.5, v[6:7]
	v_add_f64 v[101:102], v[50:51], -v[46:47]
	v_add_f64 v[107:108], v[78:79], -v[70:71]
	;; [unrolled: 1-line block ×5, first 2 shown]
	v_add_f64 v[99:100], v[96:97], v[99:100]
	v_fma_f64 v[96:97], v[105:106], -0.5, v[8:9]
	v_add_f64 v[105:106], v[46:47], v[70:71]
	v_fma_f64 v[109:110], v[92:93], s[4:5], v[90:91]
	v_fma_f64 v[90:91], v[92:93], s[14:15], v[90:91]
	v_add_f64 v[101:102], v[101:102], v[107:108]
	v_add_f64 v[107:108], v[52:53], -v[48:49]
	v_add_f64 v[117:118], v[80:81], -v[72:73]
	;; [unrolled: 1-line block ×3, first 2 shown]
	v_add_f64 v[113:114], v[113:114], v[115:116]
	v_add_f64 v[115:116], v[52:53], -v[80:81]
	v_fma_f64 v[105:106], v[105:106], -0.5, v[6:7]
	v_fma_f64 v[121:122], v[111:112], s[14:15], v[96:97]
	v_fma_f64 v[96:97], v[111:112], s[4:5], v[96:97]
	;; [unrolled: 1-line block ×4, first 2 shown]
	v_add_f64 v[107:108], v[107:108], v[117:118]
	v_fma_f64 v[111:112], v[119:120], s[14:15], v[94:95]
	v_add_f64 v[58:59], v[10:11], v[58:59]
	v_add_f64 v[6:7], v[6:7], v[46:47]
	v_fma_f64 v[46:47], v[119:120], s[4:5], v[94:95]
	v_fma_f64 v[94:95], v[115:116], s[4:5], v[105:106]
	;; [unrolled: 1-line block ×6, first 2 shown]
	v_add_f64 v[121:122], v[54:55], v[58:59]
	v_add_f64 v[6:7], v[6:7], v[50:51]
	v_fma_f64 v[50:51], v[115:116], s[10:11], v[46:47]
	v_fma_f64 v[46:47], v[119:120], s[6:7], v[94:95]
	;; [unrolled: 1-line block ×6, first 2 shown]
	v_add_f64 v[107:108], v[82:83], v[121:122]
	v_add_f64 v[6:7], v[6:7], v[78:79]
	v_fma_f64 v[78:79], v[99:100], s[16:17], v[111:112]
	v_fma_f64 v[94:95], v[101:102], s[16:17], v[46:47]
	;; [unrolled: 1-line block ×3, first 2 shown]
	v_mul_f64 v[109:110], v[96:97], s[6:7]
	v_fma_f64 v[90:91], v[101:102], s[16:17], v[105:106]
	v_mul_f64 v[101:102], v[92:93], s[14:15]
	s_mov_b32 s18, 0x9b97f4a8
	s_mov_b32 s19, 0x3fe9e377
	;; [unrolled: 1-line block ×4, first 2 shown]
	v_fma_f64 v[50:51], v[99:100], s[16:17], v[50:51]
	v_mul_f64 v[99:100], v[58:59], s[14:15]
	v_add_f64 v[107:108], v[74:75], v[107:108]
	v_add_f64 v[6:7], v[6:7], v[70:71]
	v_mul_f64 v[70:71], v[46:47], s[6:7]
	v_fma_f64 v[105:106], v[78:79], s[18:19], v[109:110]
	v_fma_f64 v[101:102], v[90:91], s[2:3], v[101:102]
	v_add_f64 v[109:110], v[26:27], v[38:39]
	s_mov_b32 s21, 0xbfe9e377
	s_mov_b32 s20, s18
	v_fma_f64 v[99:100], v[94:95], s[16:17], v[99:100]
	v_add_f64 v[130:131], v[6:7], v[107:108]
	v_fma_f64 v[70:71], v[50:51], s[20:21], v[70:71]
	v_add_f64 v[132:133], v[105:106], v[4:5]
	v_add_f64 v[134:135], v[4:5], -v[105:106]
	v_add_f64 v[140:141], v[2:3], v[101:102]
	v_add_f64 v[144:145], v[107:108], -v[6:7]
	v_fma_f64 v[4:5], v[109:110], -0.5, v[30:31]
	v_add_f64 v[6:7], v[20:21], -v[64:65]
	v_add_f64 v[146:147], v[2:3], -v[101:102]
	v_add_f64 v[2:3], v[18:19], v[62:63]
	v_add_f64 v[136:137], v[103:104], -v[99:100]
	v_add_f64 v[138:139], v[103:104], v[99:100]
	v_add_f64 v[142:143], v[70:71], v[0:1]
	v_add_f64 v[148:149], v[0:1], -v[70:71]
	v_and_b32_e32 v87, 1, v98
	v_add_f64 v[0:1], v[18:19], -v[26:27]
	v_add_f64 v[70:71], v[62:63], -v[38:39]
	v_fma_f64 v[98:99], v[6:7], s[14:15], v[4:5]
	v_add_f64 v[100:101], v[28:29], -v[40:41]
	v_fma_f64 v[2:3], v[2:3], -0.5, v[30:31]
	v_add_f64 v[102:103], v[42:43], v[34:35]
	v_fma_f64 v[4:5], v[6:7], s[4:5], v[4:5]
	v_add_f64 v[104:105], v[26:27], -v[18:19]
	v_add_f64 v[106:107], v[38:39], -v[62:63]
	v_add_f64 v[0:1], v[0:1], v[70:71]
	v_add_f64 v[110:111], v[36:37], -v[44:45]
	v_fma_f64 v[112:113], v[100:101], s[6:7], v[98:99]
	v_fma_f64 v[70:71], v[100:101], s[4:5], v[2:3]
	v_fma_f64 v[98:99], v[102:103], -0.5, v[14:15]
	v_add_f64 v[102:103], v[24:25], -v[68:69]
	v_fma_f64 v[4:5], v[100:101], s[10:11], v[4:5]
	v_fma_f64 v[2:3], v[100:101], s[14:15], v[2:3]
	v_add_f64 v[114:115], v[104:105], v[106:107]
	v_add_f64 v[100:101], v[22:23], -v[34:35]
	v_add_f64 v[104:105], v[22:23], v[66:67]
	v_add_f64 v[106:107], v[66:67], -v[42:43]
	v_fma_f64 v[116:117], v[6:7], s[6:7], v[70:71]
	v_add_f64 v[70:71], v[44:45], v[36:37]
	v_fma_f64 v[108:109], v[102:103], s[14:15], v[98:99]
	v_add_f64 v[118:119], v[24:25], v[68:69]
	v_fma_f64 v[2:3], v[6:7], s[10:11], v[2:3]
	v_add_f64 v[122:123], v[24:25], -v[36:37]
	v_fma_f64 v[6:7], v[104:105], -0.5, v[14:15]
	v_add_f64 v[100:101], v[106:107], v[100:101]
	v_add_f64 v[104:105], v[22:23], -v[66:67]
	v_fma_f64 v[70:71], v[70:71], -0.5, v[16:17]
	v_fma_f64 v[120:121], v[110:111], s[6:7], v[108:109]
	v_fma_f64 v[106:107], v[118:119], -0.5, v[16:17]
	v_add_f64 v[108:109], v[34:35], -v[42:43]
	v_add_f64 v[124:125], v[68:69], -v[44:45]
	v_add_f64 v[128:129], v[36:37], -v[24:25]
	v_add_f64 v[150:151], v[44:45], -v[68:69]
	v_fma_f64 v[98:99], v[102:103], s[4:5], v[98:99]
	v_fma_f64 v[126:127], v[104:105], s[4:5], v[70:71]
	;; [unrolled: 1-line block ×7, first 2 shown]
	v_add_f64 v[154:155], v[34:35], -v[22:23]
	v_add_f64 v[156:157], v[42:43], -v[66:67]
	v_add_f64 v[122:123], v[124:125], v[122:123]
	v_fma_f64 v[124:125], v[108:109], s[10:11], v[126:127]
	v_add_f64 v[126:127], v[150:151], v[128:129]
	v_fma_f64 v[128:129], v[104:105], s[10:11], v[152:153]
	v_fma_f64 v[104:105], v[104:105], s[6:7], v[106:107]
	;; [unrolled: 1-line block ×4, first 2 shown]
	v_add_f64 v[152:153], v[156:157], v[154:155]
	v_fma_f64 v[118:119], v[102:103], s[6:7], v[118:119]
	v_fma_f64 v[6:7], v[102:103], s[10:11], v[6:7]
	;; [unrolled: 1-line block ×10, first 2 shown]
	v_mul_f64 v[6:7], v[70:71], s[6:7]
	v_mul_f64 v[118:119], v[108:109], s[14:15]
	;; [unrolled: 1-line block ×4, first 2 shown]
	v_fma_f64 v[112:113], v[0:1], s[16:17], v[112:113]
	v_fma_f64 v[122:123], v[0:1], s[16:17], v[4:5]
	;; [unrolled: 1-line block ×8, first 2 shown]
	v_mul_u32_u24_e32 v0, 10, v86
	v_cmp_eq_u32_e32 vcc, 1, v87
	v_lshl_add_u32 v87, v0, 3, 0
	v_mov_b32_e32 v158, 0x640
	v_add_f64 v[0:1], v[112:113], -v[114:115]
	v_add_f64 v[2:3], v[116:117], -v[118:119]
	;; [unrolled: 1-line block ×4, first 2 shown]
	v_cndmask_b32_e32 v129, 0, v158, vcc
	v_lshl_add_u32 v128, v129, 3, v87
	v_cmp_gt_u32_e64 s[2:3], 60, v86
	ds_write_b128 v128, v[130:133]
	ds_write_b128 v128, v[138:141] offset:16
	ds_write_b128 v128, v[142:145] offset:32
	ds_write_b128 v128, v[134:137] offset:48
	ds_write_b128 v128, v[146:149] offset:64
	s_and_saveexec_b64 s[20:21], s[2:3]
	s_cbranch_execz .LBB0_15
; %bb.14:
	v_add_f64 v[30:31], v[30:31], v[18:19]
	v_add_f64 v[14:15], v[14:15], v[22:23]
	;; [unrolled: 1-line block ×13, first 2 shown]
	v_add_f64 v[124:125], v[22:23], -v[14:15]
	ds_write_b128 v128, v[0:3] offset:8048
	ds_write_b128 v128, v[118:121] offset:8016
	;; [unrolled: 1-line block ×5, first 2 shown]
.LBB0_15:
	s_or_b64 exec, exec, s[20:21]
	v_add_f64 v[14:15], v[56:57], v[84:85]
	v_add_f64 v[22:23], v[12:13], v[76:77]
	;; [unrolled: 1-line block ×3, first 2 shown]
	v_add_f64 v[10:11], v[10:11], -v[74:75]
	v_add_f64 v[34:35], v[54:55], -v[82:83]
	;; [unrolled: 1-line block ×5, first 2 shown]
	v_fma_f64 v[14:15], v[14:15], -0.5, v[60:61]
	v_fma_f64 v[22:23], v[22:23], -0.5, v[60:61]
	v_add_f64 v[60:61], v[84:85], -v[76:77]
	v_add_f64 v[8:9], v[8:9], v[48:49]
	v_add_f64 v[30:31], v[56:57], v[30:31]
	v_mul_f64 v[48:49], v[96:97], s[18:19]
	v_add_f64 v[42:43], v[42:43], v[54:55]
	v_mul_f64 v[54:55], v[94:95], s[4:5]
	v_fma_f64 v[56:57], v[10:11], s[4:5], v[14:15]
	v_fma_f64 v[14:15], v[10:11], s[14:15], v[14:15]
	;; [unrolled: 1-line block ×4, first 2 shown]
	v_add_f64 v[8:9], v[8:9], v[52:53]
	v_add_f64 v[12:13], v[12:13], v[60:61]
	;; [unrolled: 1-line block ×3, first 2 shown]
	v_mul_f64 v[46:47], v[46:47], s[18:19]
	v_fma_f64 v[52:53], v[34:35], s[10:11], v[56:57]
	v_fma_f64 v[14:15], v[34:35], s[6:7], v[14:15]
	;; [unrolled: 1-line block ×4, first 2 shown]
	v_add_f64 v[8:9], v[8:9], v[80:81]
	v_add_f64 v[18:19], v[18:19], -v[62:63]
	v_add_f64 v[26:27], v[26:27], -v[38:39]
	v_add_f64 v[30:31], v[76:77], v[30:31]
	v_fma_f64 v[52:53], v[42:43], s[16:17], v[52:53]
	v_fma_f64 v[14:15], v[42:43], s[16:17], v[14:15]
	;; [unrolled: 1-line block ×3, first 2 shown]
	v_add_f64 v[34:35], v[28:29], v[40:41]
	v_add_f64 v[42:43], v[20:21], v[64:65]
	v_fma_f64 v[10:11], v[12:13], s[16:17], v[10:11]
	v_add_f64 v[8:9], v[8:9], v[72:73]
	v_fma_f64 v[12:13], v[78:79], s[10:11], v[48:49]
	v_fma_f64 v[48:49], v[58:59], s[16:17], v[54:55]
	v_fma_f64 v[46:47], v[50:51], s[10:11], -v[46:47]
	v_add_f64 v[50:51], v[20:21], -v[28:29]
	v_fma_f64 v[34:35], v[34:35], -0.5, v[32:33]
	v_fma_f64 v[38:39], v[42:43], -0.5, v[32:33]
	v_add_f64 v[54:55], v[64:65], -v[40:41]
	v_add_f64 v[60:61], v[28:29], -v[20:21]
	;; [unrolled: 1-line block ×3, first 2 shown]
	v_mul_f64 v[22:23], v[92:93], s[16:17]
	v_add_f64 v[93:94], v[8:9], v[30:31]
	v_add_f64 v[122:123], v[30:31], -v[8:9]
	v_fma_f64 v[42:43], v[18:19], s[4:5], v[34:35]
	v_fma_f64 v[34:35], v[18:19], s[14:15], v[34:35]
	;; [unrolled: 1-line block ×4, first 2 shown]
	v_add_f64 v[30:31], v[50:51], v[54:55]
	v_add_f64 v[50:51], v[60:61], v[62:63]
	v_mul_f64 v[54:55], v[110:111], s[10:11]
	v_mul_f64 v[60:61], v[106:107], s[16:17]
	v_fma_f64 v[8:9], v[26:27], s[10:11], v[42:43]
	v_fma_f64 v[26:27], v[26:27], s[6:7], v[34:35]
	;; [unrolled: 1-line block ×4, first 2 shown]
	v_mul_f64 v[58:59], v[108:109], s[16:17]
	v_mul_f64 v[72:73], v[104:105], s[18:19]
	v_fma_f64 v[22:23], v[90:91], s[4:5], -v[22:23]
	v_fma_f64 v[82:83], v[70:71], s[18:19], v[54:55]
	v_fma_f64 v[42:43], v[30:31], s[16:17], v[8:9]
	;; [unrolled: 1-line block ×6, first 2 shown]
	v_fma_f64 v[62:63], v[102:103], s[4:5], -v[60:61]
	v_fma_f64 v[34:35], v[98:99], s[10:11], -v[72:73]
	v_lshlrev_b32_e32 v115, 3, v129
	v_lshlrev_b32_e32 v18, 3, v86
	v_add3_u32 v113, 0, v115, v18
	v_mul_i32_i24_e32 v18, 0xffffffb8, v86
	v_add_f64 v[95:96], v[52:53], v[12:13]
	v_add_f64 v[118:119], v[10:11], v[22:23]
	v_add_f64 v[120:121], v[14:15], v[46:47]
	v_add_f64 v[97:98], v[52:53], -v[12:13]
	v_add_f64 v[101:102], v[10:11], -v[22:23]
	;; [unrolled: 1-line block ×7, first 2 shown]
	v_add3_u32 v87, v87, v18, v115
	v_add_f64 v[116:117], v[56:57], v[48:49]
	v_add_u32_e32 v84, 0x800, v87
	v_add_u32_e32 v85, 0xc00, v87
	;; [unrolled: 1-line block ×6, first 2 shown]
	v_add_f64 v[99:100], v[56:57], -v[48:49]
	s_waitcnt lgkmcnt(0)
	s_barrier
	ds_read2_b64 v[78:81], v87 offset0:100 offset1:200
	ds_read2_b64 v[74:77], v84 offset0:44 offset1:144
	ds_read2_b64 v[70:73], v85 offset0:116 offset1:216
	ds_read2_b64 v[46:49], v90 offset0:60 offset1:160
	ds_read2_b64 v[58:61], v114 offset0:132 offset1:232
	ds_read2_b64 v[54:57], v91 offset0:76 offset1:176
	ds_read2_b64 v[50:53], v92 offset0:20 offset1:120
	ds_read_b64 v[18:19], v113
	ds_read_b64 v[22:23], v87 offset:12000
	v_add_u32_e32 v112, 0x64, v86
	s_waitcnt lgkmcnt(0)
	s_barrier
	ds_write_b128 v128, v[93:96]
	ds_write_b128 v128, v[116:119] offset:16
	ds_write_b128 v128, v[120:123] offset:32
	;; [unrolled: 1-line block ×4, first 2 shown]
	s_and_saveexec_b64 s[4:5], s[2:3]
	s_cbranch_execz .LBB0_17
; %bb.16:
	v_add_f64 v[20:21], v[32:33], v[20:21]
	v_add_f64 v[16:17], v[16:17], v[24:25]
	;; [unrolled: 1-line block ×13, first 2 shown]
	v_add_f64 v[32:33], v[20:21], -v[16:17]
	v_mul_u32_u24_e32 v16, 10, v112
	v_lshlrev_b32_e32 v16, 3, v16
	v_add3_u32 v16, 0, v16, v115
	ds_write_b128 v16, v[8:11] offset:48
	ds_write_b128 v16, v[36:39] offset:16
	ds_write_b128 v16, v[26:29]
	ds_write_b128 v16, v[30:33] offset:32
	ds_write_b128 v16, v[12:15] offset:64
.LBB0_17:
	s_or_b64 exec, exec, s[4:5]
	s_movk_i32 s4, 0xcd
	v_mul_lo_u16_sdwa v16, v86, s4 dst_sel:DWORD dst_unused:UNUSED_PAD src0_sel:BYTE_0 src1_sel:DWORD
	v_lshrrev_b16_e32 v180, 11, v16
	v_mul_lo_u16_e32 v16, 10, v180
	v_sub_u16_e32 v181, v86, v16
	v_mov_b32_e32 v16, 15
	v_mul_u32_u24_sdwa v16, v181, v16 dst_sel:DWORD dst_unused:UNUSED_PAD src0_sel:BYTE_0 src1_sel:DWORD
	v_lshlrev_b32_e32 v16, 4, v16
	s_waitcnt lgkmcnt(0)
	s_barrier
	global_load_dwordx4 v[24:27], v16, s[8:9]
	global_load_dwordx4 v[38:41], v16, s[8:9] offset:16
	global_load_dwordx4 v[42:45], v16, s[8:9] offset:32
	;; [unrolled: 1-line block ×14, first 2 shown]
	ds_read2_b64 v[136:139], v87 offset0:100 offset1:200
	ds_read2_b64 v[140:143], v84 offset0:44 offset1:144
	;; [unrolled: 1-line block ×7, first 2 shown]
	ds_read_b64 v[36:37], v113
	ds_read_b64 v[16:17], v87 offset:12000
	s_mov_b32 s16, 0x667f3bcd
	s_mov_b32 s17, 0x3fe6a09e
	;; [unrolled: 1-line block ×10, first 2 shown]
	s_waitcnt vmcnt(0) lgkmcnt(0)
	s_barrier
	v_mul_f64 v[20:21], v[136:137], v[26:27]
	v_mul_f64 v[26:27], v[78:79], v[26:27]
	;; [unrolled: 1-line block ×25, first 2 shown]
	v_fma_f64 v[20:21], v[78:79], v[24:25], v[20:21]
	v_fma_f64 v[24:25], v[136:137], v[24:25], -v[26:27]
	v_fma_f64 v[26:27], v[80:81], v[38:39], v[90:91]
	v_fma_f64 v[40:41], v[138:139], v[38:39], -v[40:41]
	;; [unrolled: 2-line block ×6, first 2 shown]
	v_fma_f64 v[32:33], v[48:49], v[28:29], v[164:165]
	v_fma_f64 v[60:61], v[60:61], v[105:106], v[168:169]
	v_fma_f64 v[78:79], v[146:147], v[105:106], -v[107:108]
	v_fma_f64 v[56:57], v[56:57], v[120:121], v[172:173]
	v_fma_f64 v[52:53], v[52:53], v[128:129], v[176:177]
	v_fma_f64 v[76:77], v[144:145], v[101:102], -v[103:104]
	v_fma_f64 v[82:83], v[152:153], v[124:125], -v[126:127]
	v_mul_f64 v[170:171], v[148:149], v[118:119]
	v_mul_f64 v[118:119], v[54:55], v[118:119]
	;; [unrolled: 1-line block ×4, first 2 shown]
	v_fma_f64 v[68:69], v[84:85], v[93:94], -v[95:96]
	v_fma_f64 v[72:73], v[58:59], v[101:102], v[166:167]
	v_fma_f64 v[58:59], v[150:151], v[120:121], -v[122:123]
	v_fma_f64 v[50:51], v[50:51], v[124:125], v[174:175]
	v_fma_f64 v[84:85], v[154:155], v[128:129], -v[130:131]
	v_add_f64 v[90:91], v[18:19], -v[32:33]
	v_add_f64 v[32:33], v[44:45], -v[56:57]
	;; [unrolled: 1-line block ×7, first 2 shown]
	v_fma_f64 v[46:47], v[46:47], v[97:98], v[162:163]
	v_fma_f64 v[54:55], v[54:55], v[116:117], v[170:171]
	v_fma_f64 v[80:81], v[148:149], v[116:117], -v[118:119]
	v_fma_f64 v[22:23], v[22:23], v[132:133], v[178:179]
	v_fma_f64 v[16:17], v[16:17], v[132:133], -v[134:135]
	v_add_f64 v[58:59], v[38:39], -v[58:59]
	v_add_f64 v[84:85], v[68:69], -v[84:85]
	;; [unrolled: 1-line block ×3, first 2 shown]
	v_fma_f64 v[26:27], v[26:27], 2.0, -v[56:57]
	v_fma_f64 v[60:61], v[40:41], 2.0, -v[78:79]
	;; [unrolled: 1-line block ×3, first 2 shown]
	v_add_f64 v[72:73], v[20:21], -v[72:73]
	v_fma_f64 v[24:25], v[24:25], 2.0, -v[76:77]
	v_fma_f64 v[64:65], v[64:65], 2.0, -v[82:83]
	v_add_f64 v[54:55], v[74:75], -v[54:55]
	v_add_f64 v[80:81], v[42:43], -v[80:81]
	v_fma_f64 v[18:19], v[18:19], 2.0, -v[90:91]
	v_fma_f64 v[44:45], v[44:45], 2.0, -v[32:33]
	;; [unrolled: 1-line block ×3, first 2 shown]
	v_add_f64 v[22:23], v[46:47], -v[22:23]
	v_add_f64 v[16:17], v[70:71], -v[16:17]
	v_fma_f64 v[68:69], v[62:63], 2.0, -v[50:51]
	v_add_f64 v[94:95], v[90:91], v[58:59]
	v_add_f64 v[62:63], v[26:27], -v[40:41]
	v_add_f64 v[40:41], v[56:57], v[84:85]
	v_fma_f64 v[20:21], v[20:21], 2.0, -v[72:73]
	v_add_f64 v[104:105], v[24:25], -v[64:65]
	v_fma_f64 v[74:75], v[74:75], 2.0, -v[54:55]
	v_fma_f64 v[42:43], v[42:43], 2.0, -v[80:81]
	;; [unrolled: 1-line block ×3, first 2 shown]
	v_add_f64 v[44:45], v[18:19], -v[44:45]
	v_fma_f64 v[70:71], v[70:71], 2.0, -v[16:17]
	v_add_f64 v[52:53], v[78:79], -v[52:53]
	v_fma_f64 v[64:65], v[90:91], 2.0, -v[94:95]
	v_fma_f64 v[56:57], v[56:57], 2.0, -v[40:41]
	v_add_f64 v[84:85], v[20:21], -v[68:69]
	v_fma_f64 v[68:69], v[24:25], 2.0, -v[104:105]
	v_add_f64 v[24:25], v[72:73], v[82:83]
	v_add_f64 v[16:17], v[54:55], v[16:17]
	v_fma_f64 v[18:19], v[18:19], 2.0, -v[44:45]
	v_fma_f64 v[26:27], v[26:27], 2.0, -v[62:63]
	;; [unrolled: 1-line block ×3, first 2 shown]
	v_add_f64 v[46:47], v[74:75], -v[46:47]
	v_add_f64 v[82:83], v[42:43], -v[70:71]
	v_fma_f64 v[70:71], v[56:57], s[10:11], v[64:65]
	v_add_f64 v[50:51], v[76:77], -v[50:51]
	v_add_f64 v[22:23], v[80:81], -v[22:23]
	v_fma_f64 v[90:91], v[72:73], 2.0, -v[24:25]
	v_fma_f64 v[54:55], v[54:55], 2.0, -v[16:17]
	;; [unrolled: 1-line block ×3, first 2 shown]
	v_add_f64 v[108:109], v[18:19], -v[26:27]
	v_fma_f64 v[26:27], v[74:75], 2.0, -v[46:47]
	v_fma_f64 v[74:75], v[78:79], s[16:17], v[70:71]
	v_fma_f64 v[70:71], v[40:41], s[16:17], v[94:95]
	v_fma_f64 v[76:77], v[76:77], 2.0, -v[50:51]
	v_fma_f64 v[72:73], v[80:81], 2.0, -v[22:23]
	v_fma_f64 v[80:81], v[54:55], s[10:11], v[90:91]
	v_add_f64 v[66:67], v[60:61], -v[66:67]
	v_fma_f64 v[42:43], v[42:43], 2.0, -v[82:83]
	v_mul_f64 v[92:93], v[56:57], s[16:17]
	v_fma_f64 v[106:107], v[64:65], 2.0, -v[74:75]
	v_fma_f64 v[118:119], v[52:53], s[16:17], v[70:71]
	v_add_f64 v[70:71], v[20:21], -v[26:27]
	v_fma_f64 v[26:27], v[16:17], s[16:17], v[24:25]
	v_fma_f64 v[56:57], v[72:73], s[10:11], v[76:77]
	;; [unrolled: 1-line block ×3, first 2 shown]
	v_add_f64 v[116:117], v[44:45], v[66:67]
	v_mul_f64 v[100:101], v[52:53], s[16:17]
	v_add_f64 v[52:53], v[84:85], v[82:83]
	v_fma_f64 v[18:19], v[18:19], 2.0, -v[108:109]
	v_add_f64 v[102:103], v[68:69], -v[42:43]
	v_fma_f64 v[20:21], v[20:21], 2.0, -v[70:71]
	v_fma_f64 v[42:43], v[22:23], s[16:17], v[50:51]
	v_fma_f64 v[82:83], v[22:23], s[16:17], v[26:27]
	v_mul_f64 v[96:97], v[78:79], s[16:17]
	v_fma_f64 v[72:73], v[54:55], s[10:11], v[56:57]
	v_fma_f64 v[78:79], v[90:91], 2.0, -v[64:65]
	v_fma_f64 v[44:45], v[44:45], 2.0, -v[116:117]
	v_fma_f64 v[26:27], v[84:85], 2.0, -v[52:53]
	v_mul_f64 v[98:99], v[40:41], s[16:17]
	v_fma_f64 v[40:41], v[94:95], 2.0, -v[118:119]
	v_add_f64 v[46:47], v[104:105], -v[46:47]
	v_fma_f64 v[94:95], v[16:17], s[10:11], v[42:43]
	v_add_f64 v[42:43], v[18:19], -v[20:21]
	v_fma_f64 v[84:85], v[24:25], 2.0, -v[82:83]
	v_fma_f64 v[80:81], v[76:77], 2.0, -v[72:73]
	v_fma_f64 v[22:23], v[78:79], s[4:5], v[106:107]
	v_fma_f64 v[16:17], v[26:27], s[10:11], v[44:45]
	s_mov_b32 s11, 0xbfd87de2
	s_mov_b32 s10, s6
	v_fma_f64 v[24:25], v[104:105], 2.0, -v[46:47]
	v_fma_f64 v[90:91], v[50:51], 2.0, -v[94:95]
	;; [unrolled: 1-line block ×3, first 2 shown]
	v_fma_f64 v[18:19], v[84:85], s[10:11], v[40:41]
	v_fma_f64 v[54:55], v[80:81], s[6:7], v[22:23]
	;; [unrolled: 1-line block ×6, first 2 shown]
	v_add_f64 v[20:21], v[108:109], v[102:103]
	v_mul_f64 v[104:105], v[26:27], s[16:17]
	v_fma_f64 v[18:19], v[90:91], s[14:15], v[18:19]
	v_fma_f64 v[56:57], v[106:107], 2.0, -v[54:55]
	v_fma_f64 v[22:23], v[72:73], s[14:15], v[22:23]
	v_mul_f64 v[106:107], v[24:25], s[16:17]
	v_fma_f64 v[24:25], v[46:47], s[16:17], v[76:77]
	v_fma_f64 v[26:27], v[94:95], s[6:7], v[110:111]
	v_fma_f64 v[44:45], v[44:45], 2.0, -v[16:17]
	v_fma_f64 v[76:77], v[108:109], 2.0, -v[20:21]
	;; [unrolled: 1-line block ×3, first 2 shown]
	v_mul_f64 v[108:109], v[52:53], s[16:17]
	v_fma_f64 v[74:75], v[74:75], 2.0, -v[22:23]
	v_mul_f64 v[110:111], v[46:47], s[16:17]
	v_fma_f64 v[46:47], v[116:117], 2.0, -v[24:25]
	v_fma_f64 v[52:53], v[118:119], 2.0, -v[26:27]
	v_mul_u32_u24_e32 v116, 0xa0, v180
	v_or_b32_sdwa v116, v116, v181 dst_sel:DWORD dst_unused:UNUSED_PAD src0_sel:DWORD src1_sel:BYTE_0
	v_lshlrev_b32_e32 v116, 3, v116
	v_add3_u32 v115, 0, v116, v115
	v_add_u32_e32 v116, 0x400, v87
	v_add_u32_e32 v117, 0xe00, v87
	ds_write2_b64 v115, v[50:51], v[56:57] offset1:10
	ds_write2_b64 v115, v[44:45], v[40:41] offset0:20 offset1:30
	ds_write2_b64 v115, v[76:77], v[74:75] offset0:40 offset1:50
	;; [unrolled: 1-line block ×7, first 2 shown]
	s_waitcnt lgkmcnt(0)
	s_barrier
	ds_read2_b64 v[40:43], v116 offset0:32 offset1:192
	ds_read2_b64 v[44:47], v117 offset0:32 offset1:192
	;; [unrolled: 1-line block ×3, first 2 shown]
	v_add_u32_e32 v114, 0x2200, v87
	ds_read2_b64 v[54:57], v114 offset0:32 offset1:192
	ds_read_b64 v[74:75], v113
	ds_read_b64 v[76:77], v87 offset:11520
	s_and_saveexec_b64 s[16:17], s[2:3]
	s_cbranch_execz .LBB0_19
; %bb.18:
	v_add_u32_e32 v0, 0x200, v87
	ds_read2_b64 v[16:19], v0 offset0:36 offset1:196
	v_add_u32_e32 v0, 0xc00, v87
	ds_read2_b64 v[20:23], v0 offset0:36 offset1:196
	;; [unrolled: 2-line block ×3, first 2 shown]
	v_add_u32_e32 v0, 0x2000, v87
	v_add_u32_e32 v4, 0x2a00, v87
	ds_read2_b64 v[0:3], v0 offset0:36 offset1:196
	ds_read2_b64 v[4:7], v4 offset0:36 offset1:196
.LBB0_19:
	s_or_b64 exec, exec, s[16:17]
	v_mul_f64 v[30:31], v[48:49], v[30:31]
	s_waitcnt lgkmcnt(0)
	s_barrier
	v_fma_f64 v[28:29], v[34:35], v[28:29], -v[30:31]
	v_add_f64 v[28:29], v[36:37], -v[28:29]
	v_add_f64 v[30:31], v[28:29], -v[32:33]
	v_fma_f64 v[32:33], v[38:39], 2.0, -v[58:59]
	v_fma_f64 v[34:35], v[36:37], 2.0, -v[28:29]
	;; [unrolled: 1-line block ×3, first 2 shown]
	v_add_f64 v[36:37], v[30:31], v[100:101]
	v_add_f64 v[32:33], v[34:35], -v[32:33]
	v_add_f64 v[38:39], v[28:29], -v[96:97]
	;; [unrolled: 1-line block ×4, first 2 shown]
	v_fma_f64 v[36:37], v[60:61], 2.0, -v[66:67]
	v_fma_f64 v[34:35], v[34:35], 2.0, -v[32:33]
	;; [unrolled: 1-line block ×3, first 2 shown]
	v_add_u32_e32 v98, 0x1800, v87
	v_add_f64 v[60:61], v[38:39], -v[92:93]
	v_fma_f64 v[68:69], v[30:31], 2.0, -v[58:59]
	v_fma_f64 v[66:67], v[32:33], 2.0, -v[48:49]
	v_fma_f64 v[30:31], v[94:95], s[14:15], v[58:59]
	v_add_f64 v[92:93], v[34:35], -v[36:37]
	v_fma_f64 v[96:97], v[28:29], 2.0, -v[60:61]
	v_add_f64 v[28:29], v[48:49], v[110:111]
	v_add_f64 v[38:39], v[66:67], -v[106:107]
	v_fma_f64 v[90:91], v[90:91], s[10:11], v[68:69]
	v_fma_f64 v[72:73], v[72:73], s[6:7], v[60:61]
	v_fma_f64 v[94:95], v[34:35], 2.0, -v[92:93]
	v_fma_f64 v[34:35], v[82:83], s[10:11], v[30:31]
	v_add_f64 v[36:37], v[92:93], -v[70:71]
	v_fma_f64 v[80:81], v[80:81], s[4:5], v[96:97]
	v_add_f64 v[32:33], v[28:29], -v[108:109]
	v_add_f64 v[28:29], v[38:39], -v[104:105]
	v_fma_f64 v[30:31], v[84:85], s[4:5], v[90:91]
	v_fma_f64 v[38:39], v[64:65], s[4:5], v[72:73]
	v_add_f64 v[62:63], v[94:95], -v[62:63]
	v_fma_f64 v[58:59], v[58:59], 2.0, -v[34:35]
	v_fma_f64 v[70:71], v[92:93], 2.0, -v[36:37]
	v_fma_f64 v[64:65], v[78:79], s[10:11], v[80:81]
	v_fma_f64 v[48:49], v[48:49], 2.0, -v[32:33]
	v_fma_f64 v[66:67], v[66:67], 2.0, -v[28:29]
	;; [unrolled: 1-line block ×6, first 2 shown]
	ds_write2_b64 v115, v[32:33], v[34:35] offset0:140 offset1:150
	ds_write2_b64 v115, v[48:49], v[58:59] offset0:60 offset1:70
	;; [unrolled: 1-line block ×7, first 2 shown]
	ds_write2_b64 v115, v[72:73], v[78:79] offset1:10
	s_waitcnt lgkmcnt(0)
	s_barrier
	ds_read2_b64 v[58:61], v116 offset0:32 offset1:192
	ds_read2_b64 v[62:65], v117 offset0:32 offset1:192
	;; [unrolled: 1-line block ×4, first 2 shown]
	ds_read_b64 v[48:49], v113
	ds_read_b64 v[78:79], v87 offset:11520
	s_and_saveexec_b64 s[4:5], s[2:3]
	s_cbranch_execz .LBB0_21
; %bb.20:
	v_add_u32_e32 v8, 0x200, v87
	ds_read2_b64 v[28:31], v8 offset0:36 offset1:196
	v_add_u32_e32 v8, 0xc00, v87
	ds_read2_b64 v[36:39], v8 offset0:36 offset1:196
	;; [unrolled: 2-line block ×3, first 2 shown]
	v_add_u32_e32 v8, 0x2000, v87
	v_add_u32_e32 v12, 0x2a00, v87
	ds_read2_b64 v[8:11], v8 offset0:36 offset1:196
	ds_read2_b64 v[12:15], v12 offset0:36 offset1:196
.LBB0_21:
	s_or_b64 exec, exec, s[4:5]
	s_and_saveexec_b64 s[4:5], s[0:1]
	s_cbranch_execz .LBB0_24
; %bb.22:
	v_mul_u32_u24_e32 v80, 9, v86
	v_lshlrev_b32_e32 v84, 4, v80
	global_load_dwordx4 v[80:83], v84, s[8:9] offset:2416
	global_load_dwordx4 v[90:93], v84, s[8:9] offset:2448
	;; [unrolled: 1-line block ×9, first 2 shown]
	s_mov_b32 s14, 0x134454ff
	s_mov_b32 s15, 0xbfee6f0e
	;; [unrolled: 1-line block ×16, first 2 shown]
	v_mov_b32_e32 v87, 0
	s_waitcnt vmcnt(8)
	v_mul_f64 v[84:85], v[42:43], v[82:83]
	s_waitcnt vmcnt(7)
	v_mul_f64 v[110:111], v[46:47], v[92:93]
	s_waitcnt vmcnt(6)
	v_mul_f64 v[125:126], v[56:57], v[96:97]
	s_waitcnt vmcnt(5)
	v_mul_f64 v[127:128], v[52:53], v[100:101]
	s_waitcnt lgkmcnt(5)
	v_mul_f64 v[82:83], v[60:61], v[82:83]
	s_waitcnt lgkmcnt(2)
	v_mul_f64 v[96:97], v[72:73], v[96:97]
	v_mul_f64 v[92:93], v[64:65], v[92:93]
	s_waitcnt vmcnt(4)
	v_mul_f64 v[129:130], v[44:45], v[102:103]
	s_waitcnt vmcnt(3)
	v_mul_f64 v[131:132], v[50:51], v[106:107]
	s_waitcnt vmcnt(2)
	v_mul_f64 v[133:134], v[76:77], v[113:114]
	s_waitcnt vmcnt(1)
	v_mul_f64 v[135:136], v[54:55], v[117:118]
	v_mul_f64 v[50:51], v[50:51], v[108:109]
	;; [unrolled: 1-line block ×6, first 2 shown]
	s_waitcnt vmcnt(0)
	v_mul_f64 v[137:138], v[40:41], v[121:122]
	v_mul_f64 v[40:41], v[40:41], v[123:124]
	v_fma_f64 v[60:61], v[60:61], v[80:81], -v[84:85]
	v_fma_f64 v[64:65], v[64:65], v[90:91], -v[110:111]
	;; [unrolled: 1-line block ×4, first 2 shown]
	v_fma_f64 v[42:43], v[42:43], v[80:81], v[82:83]
	v_fma_f64 v[80:81], v[56:57], v[94:95], v[96:97]
	;; [unrolled: 1-line block ×5, first 2 shown]
	s_waitcnt lgkmcnt(0)
	v_fma_f64 v[92:93], v[78:79], v[115:116], v[133:134]
	v_fma_f64 v[94:95], v[70:71], v[119:120], v[135:136]
	v_fma_f64 v[50:51], v[66:67], v[106:107], -v[50:51]
	v_fma_f64 v[54:55], v[70:71], v[117:118], -v[54:55]
	;; [unrolled: 1-line block ×4, first 2 shown]
	v_fma_f64 v[82:83], v[52:53], v[98:99], v[100:101]
	v_fma_f64 v[40:41], v[58:59], v[121:122], -v[40:41]
	v_add_f64 v[52:53], v[60:61], -v[64:65]
	v_add_f64 v[56:57], v[72:73], -v[68:69]
	;; [unrolled: 1-line block ×4, first 2 shown]
	v_add_f64 v[108:109], v[50:51], v[54:55]
	v_add_f64 v[131:132], v[44:45], v[62:63]
	v_fma_f64 v[66:67], v[58:59], v[123:124], v[137:138]
	v_add_f64 v[58:59], v[64:65], v[68:69]
	v_add_f64 v[100:101], v[90:91], v[94:95]
	v_add_f64 v[102:103], v[44:45], -v[62:63]
	v_add_f64 v[104:105], v[44:45], -v[50:51]
	;; [unrolled: 1-line block ×4, first 2 shown]
	v_add_f64 v[119:120], v[60:61], v[72:73]
	v_add_f64 v[121:122], v[90:91], -v[84:85]
	v_add_f64 v[123:124], v[94:95], -v[92:93]
	v_add_f64 v[125:126], v[84:85], v[92:93]
	v_add_f64 v[127:128], v[50:51], -v[44:45]
	v_add_f64 v[44:45], v[44:45], v[40:41]
	v_add_f64 v[145:146], v[52:53], v[56:57]
	;; [unrolled: 1-line block ×3, first 2 shown]
	v_fma_f64 v[96:97], v[108:109], -0.5, v[40:41]
	v_fma_f64 v[40:41], v[131:132], -0.5, v[40:41]
	v_add_f64 v[70:71], v[42:43], -v[80:81]
	v_add_f64 v[76:77], v[46:47], -v[82:83]
	;; [unrolled: 1-line block ×7, first 2 shown]
	v_add_f64 v[133:134], v[48:49], v[60:61]
	v_fma_f64 v[52:53], v[58:59], -0.5, v[48:49]
	v_fma_f64 v[58:59], v[100:101], -0.5, v[66:67]
	v_add_f64 v[78:79], v[104:105], v[106:107]
	v_fma_f64 v[48:49], v[119:120], -0.5, v[48:49]
	v_add_f64 v[104:105], v[121:122], v[123:124]
	v_fma_f64 v[106:107], v[125:126], -0.5, v[66:67]
	v_fma_f64 v[123:124], v[113:114], s[4:5], v[40:41]
	v_add_f64 v[139:140], v[64:65], -v[68:69]
	v_add_f64 v[100:101], v[115:116], v[117:118]
	v_add_f64 v[108:109], v[127:128], v[129:130]
	;; [unrolled: 1-line block ×3, first 2 shown]
	v_fma_f64 v[115:116], v[70:71], s[14:15], v[52:53]
	v_fma_f64 v[117:118], v[102:103], s[4:5], v[58:59]
	;; [unrolled: 1-line block ×5, first 2 shown]
	v_add_f64 v[141:142], v[46:47], v[82:83]
	v_fma_f64 v[119:120], v[110:111], s[14:15], v[96:97]
	v_fma_f64 v[48:49], v[76:77], s[14:15], v[48:49]
	;; [unrolled: 1-line block ×5, first 2 shown]
	v_add_f64 v[64:65], v[64:65], v[68:69]
	v_fma_f64 v[68:69], v[76:77], s[6:7], v[115:116]
	v_fma_f64 v[115:116], v[98:99], s[10:11], v[117:118]
	;; [unrolled: 1-line block ×5, first 2 shown]
	v_add_f64 v[60:61], v[60:61], -v[72:73]
	v_add_f64 v[44:45], v[50:51], v[44:45]
	v_fma_f64 v[50:51], v[141:142], -0.5, v[74:75]
	v_fma_f64 v[52:53], v[70:71], s[4:5], v[52:53]
	v_fma_f64 v[119:120], v[113:114], s[6:7], v[119:120]
	;; [unrolled: 1-line block ×7, first 2 shown]
	v_mul_f64 v[113:114], v[123:124], s[18:19]
	v_fma_f64 v[58:59], v[102:103], s[14:15], v[58:59]
	v_add_f64 v[44:45], v[54:55], v[44:45]
	v_fma_f64 v[119:120], v[78:79], s[0:1], v[119:120]
	v_fma_f64 v[40:41], v[108:109], s[0:1], v[40:41]
	v_add_f64 v[143:144], v[42:43], v[80:81]
	v_add_f64 v[135:136], v[42:43], -v[46:47]
	v_add_f64 v[137:138], v[80:81], -v[82:83]
	v_fma_f64 v[108:109], v[106:107], s[4:5], v[113:114]
	v_fma_f64 v[113:114], v[60:61], s[4:5], v[50:51]
	;; [unrolled: 1-line block ×6, first 2 shown]
	v_add_f64 v[117:118], v[72:73], v[64:65]
	v_add_f64 v[66:67], v[84:85], v[66:67]
	v_fma_f64 v[102:103], v[56:57], s[0:1], v[115:116]
	v_fma_f64 v[64:65], v[139:140], s[10:11], v[113:114]
	v_add_f64 v[113:114], v[62:63], v[44:45]
	v_add_f64 v[62:63], v[46:47], -v[42:43]
	v_add_f64 v[42:43], v[74:75], v[42:43]
	v_mul_f64 v[110:111], v[119:120], s[16:17]
	v_mul_f64 v[44:45], v[119:120], s[6:7]
	v_fma_f64 v[54:55], v[143:144], -0.5, v[74:75]
	v_fma_f64 v[100:101], v[100:101], s[0:1], v[48:49]
	v_add_f64 v[48:49], v[135:136], v[137:138]
	v_add_f64 v[72:73], v[82:83], -v[80:81]
	v_fma_f64 v[78:79], v[145:146], s[0:1], v[68:69]
	v_add_f64 v[42:43], v[42:43], v[46:47]
	v_add_f64 v[46:47], v[90:91], v[66:67]
	v_fma_f64 v[98:99], v[102:103], s[10:11], v[110:111]
	v_fma_f64 v[102:103], v[102:103], s[16:17], v[44:45]
	;; [unrolled: 1-line block ×6, first 2 shown]
	v_mul_f64 v[64:65], v[123:124], s[14:15]
	v_add_f64 v[42:43], v[42:43], v[82:83]
	v_add_f64 v[46:47], v[94:95], v[46:47]
	v_fma_f64 v[68:69], v[104:105], s[0:1], v[70:71]
	v_fma_f64 v[104:105], v[56:57], s[0:1], v[52:53]
	v_mul_f64 v[110:111], v[58:59], s[20:21]
	v_fma_f64 v[44:45], v[139:140], s[6:7], v[44:45]
	v_mul_f64 v[58:59], v[58:59], s[6:7]
	v_mul_f64 v[70:71], v[40:41], s[0:1]
	v_add_f64 v[50:51], v[62:63], v[72:73]
	v_fma_f64 v[62:63], v[60:61], s[10:11], v[74:75]
	v_fma_f64 v[54:55], v[60:61], s[6:7], v[54:55]
	v_mul_f64 v[40:41], v[40:41], s[14:15]
	v_fma_f64 v[82:83], v[106:107], s[18:19], v[64:65]
	v_add_f64 v[106:107], v[80:81], v[42:43]
	v_add_f64 v[92:93], v[92:93], v[46:47]
	v_fma_f64 v[115:116], v[145:146], s[0:1], v[76:77]
	v_fma_f64 v[110:111], v[104:105], s[10:11], v[110:111]
	;; [unrolled: 1-line block ×8, first 2 shown]
	v_add_f64 v[52:53], v[78:79], -v[98:99]
	v_add_f64 v[48:49], v[78:79], v[98:99]
	v_add_f64 v[80:81], v[117:118], v[113:114]
	;; [unrolled: 1-line block ×5, first 2 shown]
	v_add_f64 v[60:61], v[100:101], -v[70:71]
	v_add_f64 v[54:55], v[74:75], -v[82:83]
	;; [unrolled: 1-line block ×3, first 2 shown]
	v_add_f64 v[76:77], v[100:101], v[70:71]
	v_add_f64 v[70:71], v[74:75], v[82:83]
	;; [unrolled: 1-line block ×3, first 2 shown]
	v_mov_b32_e32 v40, s13
	v_add_co_u32_e32 v82, vcc, s12, v88
	v_add_f64 v[46:47], v[84:85], v[102:103]
	v_addc_co_u32_e32 v83, vcc, v40, v89, vcc
	v_lshlrev_b64 v[40:41], 4, v[86:87]
	v_add_f64 v[72:73], v[96:97], v[108:109]
	v_add_co_u32_e32 v40, vcc, v82, v40
	v_addc_co_u32_e32 v41, vcc, v83, v41, vcc
	s_movk_i32 s12, 0x1000
	v_add_f64 v[68:69], v[117:118], -v[113:114]
	v_add_f64 v[66:67], v[106:107], -v[92:93]
	global_store_dwordx4 v[40:41], v[78:81], off
	global_store_dwordx4 v[40:41], v[42:45], off offset:2560
	v_add_f64 v[64:65], v[115:116], -v[110:111]
	v_add_co_u32_e32 v42, vcc, s12, v40
	v_add_f64 v[62:63], v[94:95], -v[104:105]
	v_addc_co_u32_e32 v43, vcc, 0, v41, vcc
	s_movk_i32 s12, 0x2000
	v_add_co_u32_e32 v44, vcc, s12, v40
	v_addc_co_u32_e32 v45, vcc, 0, v41, vcc
	s_movk_i32 s12, 0x3000
	global_store_dwordx4 v[42:43], v[74:77], off offset:1024
	global_store_dwordx4 v[42:43], v[70:73], off offset:3584
	;; [unrolled: 1-line block ×3, first 2 shown]
	v_add_f64 v[56:57], v[96:97], -v[108:109]
	v_add_co_u32_e32 v46, vcc, s12, v40
	v_addc_co_u32_e32 v47, vcc, 0, v41, vcc
	s_movk_i32 s12, 0x4000
	v_add_co_u32_e32 v48, vcc, s12, v40
	v_add_f64 v[50:51], v[84:85], -v[102:103]
	v_addc_co_u32_e32 v49, vcc, 0, v41, vcc
	global_store_dwordx4 v[46:47], v[66:69], off offset:512
	global_store_dwordx4 v[46:47], v[62:65], off offset:3072
	;; [unrolled: 1-line block ×3, first 2 shown]
	s_nop 0
	v_or_b32_e32 v58, 0x500, v86
	v_mov_b32_e32 v59, v87
	v_lshlrev_b64 v[58:59], 4, v[58:59]
	v_add_co_u32_e32 v58, vcc, v82, v58
	v_addc_co_u32_e32 v59, vcc, v83, v59, vcc
	global_store_dwordx4 v[58:59], v[54:57], off
	s_nop 0
	v_add_co_u32_e32 v54, vcc, 0x5000, v40
	v_addc_co_u32_e32 v55, vcc, 0, v41, vcc
	global_store_dwordx4 v[54:55], v[50:53], off offset:2560
	s_and_b64 exec, exec, s[2:3]
	s_cbranch_execz .LBB0_24
; %bb.23:
	v_subrev_u32_e32 v50, 60, v86
	v_cndmask_b32_e64 v50, v50, v112, s[2:3]
	v_mul_i32_i24_e32 v86, 9, v50
	v_lshlrev_b64 v[50:51], 4, v[86:87]
	v_mov_b32_e32 v52, s9
	v_add_co_u32_e32 v86, vcc, s8, v50
	v_addc_co_u32_e32 v87, vcc, v52, v51, vcc
	global_load_dwordx4 v[50:53], v[86:87], off offset:2400
	global_load_dwordx4 v[54:57], v[86:87], off offset:2416
	;; [unrolled: 1-line block ×9, first 2 shown]
	s_waitcnt vmcnt(8)
	v_mul_f64 v[86:87], v[30:31], v[52:53]
	s_waitcnt vmcnt(7)
	v_mul_f64 v[88:89], v[36:37], v[56:57]
	v_mul_f64 v[56:57], v[20:21], v[56:57]
	s_waitcnt vmcnt(5)
	v_mul_f64 v[92:93], v[32:33], v[64:65]
	;; [unrolled: 3-line block ×4, first 2 shown]
	v_mul_f64 v[80:81], v[4:5], v[80:81]
	v_mul_f64 v[52:53], v[18:19], v[52:53]
	;; [unrolled: 1-line block ×6, first 2 shown]
	v_fma_f64 v[20:21], v[20:21], v[54:55], v[88:89]
	v_fma_f64 v[36:37], v[36:37], v[54:55], -v[56:57]
	v_fma_f64 v[24:25], v[24:25], v[62:63], v[92:93]
	v_fma_f64 v[32:33], v[32:33], v[62:63], -v[64:65]
	;; [unrolled: 2-line block ×3, first 2 shown]
	v_fma_f64 v[12:13], v[12:13], v[78:79], -v[80:81]
	v_fma_f64 v[4:5], v[4:5], v[78:79], v[100:101]
	v_mul_f64 v[98:99], v[10:11], v[76:77]
	v_mul_f64 v[76:77], v[2:3], v[76:77]
	s_waitcnt vmcnt(0)
	v_mul_f64 v[102:103], v[14:15], v[84:85]
	v_mul_f64 v[84:85], v[6:7], v[84:85]
	v_fma_f64 v[18:19], v[18:19], v[50:51], v[86:87]
	v_fma_f64 v[30:31], v[30:31], v[50:51], -v[52:53]
	v_fma_f64 v[22:23], v[22:23], v[58:59], v[90:91]
	v_fma_f64 v[38:39], v[38:39], v[58:59], -v[60:61]
	v_fma_f64 v[34:35], v[34:35], v[66:67], -v[68:69]
	v_add_f64 v[50:51], v[16:17], v[20:21]
	v_add_f64 v[52:53], v[24:25], v[0:1]
	v_add_f64 v[58:59], v[20:21], -v[24:25]
	v_add_f64 v[60:61], v[4:5], -v[0:1]
	v_add_f64 v[62:63], v[20:21], v[4:5]
	v_add_f64 v[68:69], v[28:29], v[36:37]
	;; [unrolled: 1-line block ×4, first 2 shown]
	v_fma_f64 v[26:27], v[26:27], v[66:67], v[94:95]
	v_fma_f64 v[2:3], v[2:3], v[74:75], v[98:99]
	v_fma_f64 v[10:11], v[10:11], v[74:75], -v[76:77]
	v_fma_f64 v[6:7], v[6:7], v[82:83], v[102:103]
	v_fma_f64 v[14:15], v[14:15], v[82:83], -v[84:85]
	v_add_f64 v[54:55], v[36:37], -v[12:13]
	v_add_f64 v[56:57], v[32:33], -v[8:9]
	;; [unrolled: 1-line block ×9, first 2 shown]
	v_add_f64 v[82:83], v[18:19], v[22:23]
	v_add_f64 v[24:25], v[50:51], v[24:25]
	v_fma_f64 v[50:51], v[52:53], -0.5, v[16:17]
	v_add_f64 v[52:53], v[58:59], v[60:61]
	v_fma_f64 v[16:17], v[62:63], -0.5, v[16:17]
	;; [unrolled: 2-line block ×3, first 2 shown]
	v_fma_f64 v[28:29], v[78:79], -0.5, v[28:29]
	v_add_f64 v[80:81], v[8:9], -v[12:13]
	v_add_f64 v[90:91], v[22:23], -v[26:27]
	v_add_f64 v[92:93], v[6:7], -v[2:3]
	v_add_f64 v[96:97], v[34:35], v[10:11]
	v_add_f64 v[58:59], v[64:65], v[66:67]
	;; [unrolled: 1-line block ×5, first 2 shown]
	v_fma_f64 v[24:25], v[54:55], s[14:15], v[50:51]
	v_fma_f64 v[50:51], v[54:55], s[4:5], v[50:51]
	;; [unrolled: 1-line block ×4, first 2 shown]
	v_add_f64 v[8:9], v[32:33], v[8:9]
	v_fma_f64 v[32:33], v[20:21], s[4:5], v[60:61]
	v_fma_f64 v[60:61], v[20:21], s[14:15], v[60:61]
	;; [unrolled: 1-line block ×4, first 2 shown]
	v_add_f64 v[102:103], v[38:39], v[14:15]
	v_add_f64 v[84:85], v[26:27], v[2:3]
	;; [unrolled: 1-line block ×3, first 2 shown]
	v_add_f64 v[98:99], v[22:23], -v[6:7]
	v_add_f64 v[36:37], v[36:37], v[80:81]
	v_add_f64 v[68:69], v[90:91], v[92:93]
	v_fma_f64 v[70:71], v[96:97], -0.5, v[30:31]
	v_add_f64 v[64:65], v[64:65], v[2:3]
	v_add_f64 v[90:91], v[0:1], v[4:5]
	v_fma_f64 v[0:1], v[56:57], s[6:7], v[24:25]
	v_fma_f64 v[4:5], v[56:57], s[10:11], v[50:51]
	;; [unrolled: 1-line block ×4, first 2 shown]
	v_add_f64 v[50:51], v[8:9], v[12:13]
	v_fma_f64 v[8:9], v[72:73], s[10:11], v[32:33]
	v_fma_f64 v[12:13], v[72:73], s[6:7], v[60:61]
	;; [unrolled: 1-line block ×4, first 2 shown]
	v_add_f64 v[100:101], v[26:27], -v[2:3]
	v_fma_f64 v[74:75], v[102:103], -0.5, v[30:31]
	v_add_f64 v[86:87], v[38:39], -v[14:15]
	v_add_f64 v[88:89], v[34:35], -v[10:11]
	v_fma_f64 v[66:67], v[84:85], -0.5, v[18:19]
	v_fma_f64 v[18:19], v[94:95], -0.5, v[18:19]
	v_fma_f64 v[84:85], v[98:99], s[4:5], v[70:71]
	v_add_f64 v[28:29], v[64:65], v[6:7]
	v_fma_f64 v[60:61], v[58:59], s[0:1], v[24:25]
	v_fma_f64 v[58:59], v[58:59], s[0:1], v[16:17]
	;; [unrolled: 1-line block ×5, first 2 shown]
	v_add_f64 v[12:13], v[26:27], -v[22:23]
	v_add_f64 v[16:17], v[38:39], -v[34:35]
	;; [unrolled: 1-line block ×3, first 2 shown]
	v_add_f64 v[22:23], v[30:31], v[38:39]
	v_fma_f64 v[72:73], v[36:37], s[0:1], v[32:33]
	v_fma_f64 v[26:27], v[100:101], s[14:15], v[74:75]
	v_add_f64 v[30:31], v[34:35], -v[38:39]
	v_add_f64 v[32:33], v[10:11], -v[14:15]
	v_fma_f64 v[36:37], v[100:101], s[4:5], v[74:75]
	v_fma_f64 v[38:39], v[98:99], s[14:15], v[70:71]
	;; [unrolled: 1-line block ×5, first 2 shown]
	v_add_f64 v[16:17], v[16:17], v[20:21]
	v_add_f64 v[2:3], v[2:3], -v[6:7]
	v_fma_f64 v[6:7], v[88:89], s[14:15], v[18:19]
	v_add_f64 v[18:19], v[22:23], v[34:35]
	v_fma_f64 v[20:21], v[98:99], s[10:11], v[26:27]
	v_add_f64 v[22:23], v[30:31], v[32:33]
	v_fma_f64 v[26:27], v[98:99], s[6:7], v[36:37]
	v_fma_f64 v[66:67], v[86:87], s[4:5], v[66:67]
	;; [unrolled: 1-line block ×5, first 2 shown]
	v_add_f64 v[10:11], v[18:19], v[10:11]
	v_fma_f64 v[56:57], v[52:53], s[0:1], v[0:1]
	v_fma_f64 v[52:53], v[52:53], s[0:1], v[4:5]
	;; [unrolled: 1-line block ×3, first 2 shown]
	v_add_f64 v[2:3], v[12:13], v[2:3]
	v_fma_f64 v[6:7], v[86:87], s[10:11], v[6:7]
	v_fma_f64 v[18:19], v[22:23], s[0:1], v[20:21]
	;; [unrolled: 1-line block ×6, first 2 shown]
	v_mul_f64 v[22:23], v[24:25], s[6:7]
	v_add_f64 v[30:31], v[10:11], v[14:15]
	v_mul_f64 v[14:15], v[24:25], s[20:21]
	v_fma_f64 v[26:27], v[2:3], s[0:1], v[4:5]
	v_fma_f64 v[2:3], v[2:3], s[0:1], v[6:7]
	v_mul_f64 v[4:5], v[18:19], s[14:15]
	v_mul_f64 v[6:7], v[20:21], s[14:15]
	;; [unrolled: 1-line block ×4, first 2 shown]
	v_fma_f64 v[12:13], v[68:69], s[0:1], v[0:1]
	v_mul_f64 v[10:11], v[16:17], s[6:7]
	v_mul_f64 v[16:17], v[16:17], s[16:17]
	v_fma_f64 v[22:23], v[8:9], s[20:21], v[22:23]
	v_fma_f64 v[38:39], v[8:9], s[10:11], v[14:15]
	;; [unrolled: 1-line block ×8, first 2 shown]
	v_add_f64 v[0:1], v[90:91], v[28:29]
	v_add_f64 v[2:3], v[50:51], v[30:31]
	;; [unrolled: 1-line block ×7, first 2 shown]
	v_add_f64 v[20:21], v[90:91], -v[28:29]
	v_add_f64 v[28:29], v[60:61], -v[32:33]
	v_add_f64 v[32:33], v[58:59], -v[34:35]
	v_add_f64 v[34:35], v[76:77], -v[66:67]
	v_add_f64 v[14:15], v[76:77], v[66:67]
	v_add_f64 v[16:17], v[52:53], v[36:37]
	;; [unrolled: 1-line block ×3, first 2 shown]
	v_add_f64 v[36:37], v[52:53], -v[36:37]
	v_add_f64 v[26:27], v[64:65], -v[38:39]
	v_add_f64 v[38:39], v[62:63], -v[68:69]
	v_add_f64 v[24:25], v[56:57], -v[22:23]
	v_add_f64 v[22:23], v[50:51], -v[30:31]
	v_add_f64 v[30:31], v[72:73], -v[54:55]
	global_store_dwordx4 v[40:41], v[0:3], off offset:1600
	global_store_dwordx4 v[42:43], v[4:7], off offset:64
	;; [unrolled: 1-line block ×8, first 2 shown]
	v_add_co_u32_e32 v0, vcc, 0x5000, v40
	v_addc_co_u32_e32 v1, vcc, 0, v41, vcc
	global_store_dwordx4 v[0:1], v[32:35], off offset:1600
	v_add_co_u32_e32 v0, vcc, 0x6000, v40
	v_addc_co_u32_e32 v1, vcc, 0, v41, vcc
	global_store_dwordx4 v[0:1], v[36:39], off offset:64
.LBB0_24:
	s_endpgm
	.section	.rodata,"a",@progbits
	.p2align	6, 0x0
	.amdhsa_kernel fft_rtc_back_len1600_factors_10_16_10_wgs_200_tpt_100_halfLds_dp_ip_CI_unitstride_sbrr_dirReg
		.amdhsa_group_segment_fixed_size 0
		.amdhsa_private_segment_fixed_size 0
		.amdhsa_kernarg_size 88
		.amdhsa_user_sgpr_count 6
		.amdhsa_user_sgpr_private_segment_buffer 1
		.amdhsa_user_sgpr_dispatch_ptr 0
		.amdhsa_user_sgpr_queue_ptr 0
		.amdhsa_user_sgpr_kernarg_segment_ptr 1
		.amdhsa_user_sgpr_dispatch_id 0
		.amdhsa_user_sgpr_flat_scratch_init 0
		.amdhsa_user_sgpr_private_segment_size 0
		.amdhsa_uses_dynamic_stack 0
		.amdhsa_system_sgpr_private_segment_wavefront_offset 0
		.amdhsa_system_sgpr_workgroup_id_x 1
		.amdhsa_system_sgpr_workgroup_id_y 0
		.amdhsa_system_sgpr_workgroup_id_z 0
		.amdhsa_system_sgpr_workgroup_info 0
		.amdhsa_system_vgpr_workitem_id 0
		.amdhsa_next_free_vgpr 182
		.amdhsa_next_free_sgpr 22
		.amdhsa_reserve_vcc 1
		.amdhsa_reserve_flat_scratch 0
		.amdhsa_float_round_mode_32 0
		.amdhsa_float_round_mode_16_64 0
		.amdhsa_float_denorm_mode_32 3
		.amdhsa_float_denorm_mode_16_64 3
		.amdhsa_dx10_clamp 1
		.amdhsa_ieee_mode 1
		.amdhsa_fp16_overflow 0
		.amdhsa_exception_fp_ieee_invalid_op 0
		.amdhsa_exception_fp_denorm_src 0
		.amdhsa_exception_fp_ieee_div_zero 0
		.amdhsa_exception_fp_ieee_overflow 0
		.amdhsa_exception_fp_ieee_underflow 0
		.amdhsa_exception_fp_ieee_inexact 0
		.amdhsa_exception_int_div_zero 0
	.end_amdhsa_kernel
	.text
.Lfunc_end0:
	.size	fft_rtc_back_len1600_factors_10_16_10_wgs_200_tpt_100_halfLds_dp_ip_CI_unitstride_sbrr_dirReg, .Lfunc_end0-fft_rtc_back_len1600_factors_10_16_10_wgs_200_tpt_100_halfLds_dp_ip_CI_unitstride_sbrr_dirReg
                                        ; -- End function
	.section	.AMDGPU.csdata,"",@progbits
; Kernel info:
; codeLenInByte = 10612
; NumSgprs: 26
; NumVgprs: 182
; ScratchSize: 0
; MemoryBound: 1
; FloatMode: 240
; IeeeMode: 1
; LDSByteSize: 0 bytes/workgroup (compile time only)
; SGPRBlocks: 3
; VGPRBlocks: 45
; NumSGPRsForWavesPerEU: 26
; NumVGPRsForWavesPerEU: 182
; Occupancy: 1
; WaveLimiterHint : 1
; COMPUTE_PGM_RSRC2:SCRATCH_EN: 0
; COMPUTE_PGM_RSRC2:USER_SGPR: 6
; COMPUTE_PGM_RSRC2:TRAP_HANDLER: 0
; COMPUTE_PGM_RSRC2:TGID_X_EN: 1
; COMPUTE_PGM_RSRC2:TGID_Y_EN: 0
; COMPUTE_PGM_RSRC2:TGID_Z_EN: 0
; COMPUTE_PGM_RSRC2:TIDIG_COMP_CNT: 0
	.type	__hip_cuid_6b42ec31e576771e,@object ; @__hip_cuid_6b42ec31e576771e
	.section	.bss,"aw",@nobits
	.globl	__hip_cuid_6b42ec31e576771e
__hip_cuid_6b42ec31e576771e:
	.byte	0                               ; 0x0
	.size	__hip_cuid_6b42ec31e576771e, 1

	.ident	"AMD clang version 19.0.0git (https://github.com/RadeonOpenCompute/llvm-project roc-6.4.0 25133 c7fe45cf4b819c5991fe208aaa96edf142730f1d)"
	.section	".note.GNU-stack","",@progbits
	.addrsig
	.addrsig_sym __hip_cuid_6b42ec31e576771e
	.amdgpu_metadata
---
amdhsa.kernels:
  - .args:
      - .actual_access:  read_only
        .address_space:  global
        .offset:         0
        .size:           8
        .value_kind:     global_buffer
      - .offset:         8
        .size:           8
        .value_kind:     by_value
      - .actual_access:  read_only
        .address_space:  global
        .offset:         16
        .size:           8
        .value_kind:     global_buffer
      - .actual_access:  read_only
        .address_space:  global
        .offset:         24
        .size:           8
        .value_kind:     global_buffer
      - .offset:         32
        .size:           8
        .value_kind:     by_value
      - .actual_access:  read_only
        .address_space:  global
        .offset:         40
        .size:           8
        .value_kind:     global_buffer
      - .actual_access:  read_only
        .address_space:  global
        .offset:         48
        .size:           8
        .value_kind:     global_buffer
      - .offset:         56
        .size:           4
        .value_kind:     by_value
      - .actual_access:  read_only
        .address_space:  global
        .offset:         64
        .size:           8
        .value_kind:     global_buffer
      - .actual_access:  read_only
        .address_space:  global
        .offset:         72
        .size:           8
        .value_kind:     global_buffer
      - .address_space:  global
        .offset:         80
        .size:           8
        .value_kind:     global_buffer
    .group_segment_fixed_size: 0
    .kernarg_segment_align: 8
    .kernarg_segment_size: 88
    .language:       OpenCL C
    .language_version:
      - 2
      - 0
    .max_flat_workgroup_size: 200
    .name:           fft_rtc_back_len1600_factors_10_16_10_wgs_200_tpt_100_halfLds_dp_ip_CI_unitstride_sbrr_dirReg
    .private_segment_fixed_size: 0
    .sgpr_count:     26
    .sgpr_spill_count: 0
    .symbol:         fft_rtc_back_len1600_factors_10_16_10_wgs_200_tpt_100_halfLds_dp_ip_CI_unitstride_sbrr_dirReg.kd
    .uniform_work_group_size: 1
    .uses_dynamic_stack: false
    .vgpr_count:     182
    .vgpr_spill_count: 0
    .wavefront_size: 64
amdhsa.target:   amdgcn-amd-amdhsa--gfx906
amdhsa.version:
  - 1
  - 2
...

	.end_amdgpu_metadata
